;; amdgpu-corpus repo=ROCm/rocFFT kind=compiled arch=gfx1030 opt=O3
	.text
	.amdgcn_target "amdgcn-amd-amdhsa--gfx1030"
	.amdhsa_code_object_version 6
	.protected	fft_rtc_back_len90_factors_3_3_10_wgs_63_tpt_9_halfLds_dp_ip_CI_unitstride_sbrr_R2C_dirReg ; -- Begin function fft_rtc_back_len90_factors_3_3_10_wgs_63_tpt_9_halfLds_dp_ip_CI_unitstride_sbrr_R2C_dirReg
	.globl	fft_rtc_back_len90_factors_3_3_10_wgs_63_tpt_9_halfLds_dp_ip_CI_unitstride_sbrr_R2C_dirReg
	.p2align	8
	.type	fft_rtc_back_len90_factors_3_3_10_wgs_63_tpt_9_halfLds_dp_ip_CI_unitstride_sbrr_R2C_dirReg,@function
fft_rtc_back_len90_factors_3_3_10_wgs_63_tpt_9_halfLds_dp_ip_CI_unitstride_sbrr_R2C_dirReg: ; @fft_rtc_back_len90_factors_3_3_10_wgs_63_tpt_9_halfLds_dp_ip_CI_unitstride_sbrr_R2C_dirReg
; %bb.0:
	s_load_dwordx4 s[8:11], s[4:5], 0x0
	v_mul_u32_u24_e32 v1, 0x1c72, v0
	s_clause 0x1
	s_load_dwordx2 s[2:3], s[4:5], 0x50
	s_load_dwordx2 s[12:13], s[4:5], 0x18
	v_mov_b32_e32 v5, 0
	v_mov_b32_e32 v3, 0
	;; [unrolled: 1-line block ×3, first 2 shown]
	v_lshrrev_b32_e32 v1, 16, v1
	v_mad_u64_u32 v[1:2], null, s6, 7, v[1:2]
	v_mov_b32_e32 v2, v5
	v_mov_b32_e32 v10, v2
	;; [unrolled: 1-line block ×3, first 2 shown]
	s_waitcnt lgkmcnt(0)
	v_cmp_lt_u64_e64 s0, s[10:11], 2
	s_and_b32 vcc_lo, exec_lo, s0
	s_cbranch_vccnz .LBB0_8
; %bb.1:
	s_load_dwordx2 s[0:1], s[4:5], 0x10
	v_mov_b32_e32 v3, 0
	v_mov_b32_e32 v8, v2
	s_add_u32 s6, s12, 8
	v_mov_b32_e32 v4, 0
	v_mov_b32_e32 v7, v1
	s_addc_u32 s7, s13, 0
	s_mov_b64 s[16:17], 1
	s_waitcnt lgkmcnt(0)
	s_add_u32 s14, s0, 8
	s_addc_u32 s15, s1, 0
.LBB0_2:                                ; =>This Inner Loop Header: Depth=1
	s_load_dwordx2 s[18:19], s[14:15], 0x0
                                        ; implicit-def: $vgpr9_vgpr10
	s_mov_b32 s0, exec_lo
	s_waitcnt lgkmcnt(0)
	v_or_b32_e32 v6, s19, v8
	v_cmpx_ne_u64_e32 0, v[5:6]
	s_xor_b32 s1, exec_lo, s0
	s_cbranch_execz .LBB0_4
; %bb.3:                                ;   in Loop: Header=BB0_2 Depth=1
	v_cvt_f32_u32_e32 v2, s18
	v_cvt_f32_u32_e32 v6, s19
	s_sub_u32 s0, 0, s18
	s_subb_u32 s20, 0, s19
	v_fmac_f32_e32 v2, 0x4f800000, v6
	v_rcp_f32_e32 v2, v2
	v_mul_f32_e32 v2, 0x5f7ffffc, v2
	v_mul_f32_e32 v6, 0x2f800000, v2
	v_trunc_f32_e32 v6, v6
	v_fmac_f32_e32 v2, 0xcf800000, v6
	v_cvt_u32_f32_e32 v6, v6
	v_cvt_u32_f32_e32 v2, v2
	v_mul_lo_u32 v9, s0, v6
	v_mul_hi_u32 v10, s0, v2
	v_mul_lo_u32 v11, s20, v2
	v_add_nc_u32_e32 v9, v10, v9
	v_mul_lo_u32 v10, s0, v2
	v_add_nc_u32_e32 v9, v9, v11
	v_mul_hi_u32 v11, v2, v10
	v_mul_lo_u32 v12, v2, v9
	v_mul_hi_u32 v13, v2, v9
	v_mul_hi_u32 v14, v6, v10
	v_mul_lo_u32 v10, v6, v10
	v_mul_hi_u32 v15, v6, v9
	v_mul_lo_u32 v9, v6, v9
	v_add_co_u32 v11, vcc_lo, v11, v12
	v_add_co_ci_u32_e32 v12, vcc_lo, 0, v13, vcc_lo
	v_add_co_u32 v10, vcc_lo, v11, v10
	v_add_co_ci_u32_e32 v10, vcc_lo, v12, v14, vcc_lo
	v_add_co_ci_u32_e32 v11, vcc_lo, 0, v15, vcc_lo
	v_add_co_u32 v9, vcc_lo, v10, v9
	v_add_co_ci_u32_e32 v10, vcc_lo, 0, v11, vcc_lo
	v_add_co_u32 v2, vcc_lo, v2, v9
	v_add_co_ci_u32_e32 v6, vcc_lo, v6, v10, vcc_lo
	v_mul_hi_u32 v9, s0, v2
	v_mul_lo_u32 v11, s20, v2
	v_mul_lo_u32 v10, s0, v6
	v_add_nc_u32_e32 v9, v9, v10
	v_mul_lo_u32 v10, s0, v2
	v_add_nc_u32_e32 v9, v9, v11
	v_mul_hi_u32 v11, v2, v10
	v_mul_lo_u32 v12, v2, v9
	v_mul_hi_u32 v13, v2, v9
	v_mul_hi_u32 v14, v6, v10
	v_mul_lo_u32 v10, v6, v10
	v_mul_hi_u32 v15, v6, v9
	v_mul_lo_u32 v9, v6, v9
	v_add_co_u32 v11, vcc_lo, v11, v12
	v_add_co_ci_u32_e32 v12, vcc_lo, 0, v13, vcc_lo
	v_add_co_u32 v10, vcc_lo, v11, v10
	v_add_co_ci_u32_e32 v10, vcc_lo, v12, v14, vcc_lo
	v_add_co_ci_u32_e32 v11, vcc_lo, 0, v15, vcc_lo
	v_add_co_u32 v9, vcc_lo, v10, v9
	v_add_co_ci_u32_e32 v10, vcc_lo, 0, v11, vcc_lo
	v_add_co_u32 v2, vcc_lo, v2, v9
	v_add_co_ci_u32_e32 v6, vcc_lo, v6, v10, vcc_lo
	v_mul_hi_u32 v15, v7, v2
	v_mad_u64_u32 v[11:12], null, v8, v2, 0
	v_mad_u64_u32 v[9:10], null, v7, v6, 0
	v_mad_u64_u32 v[13:14], null, v8, v6, 0
	v_add_co_u32 v2, vcc_lo, v15, v9
	v_add_co_ci_u32_e32 v6, vcc_lo, 0, v10, vcc_lo
	v_add_co_u32 v2, vcc_lo, v2, v11
	v_add_co_ci_u32_e32 v2, vcc_lo, v6, v12, vcc_lo
	v_add_co_ci_u32_e32 v6, vcc_lo, 0, v14, vcc_lo
	v_add_co_u32 v2, vcc_lo, v2, v13
	v_add_co_ci_u32_e32 v6, vcc_lo, 0, v6, vcc_lo
	v_mul_lo_u32 v11, s19, v2
	v_mad_u64_u32 v[9:10], null, s18, v2, 0
	v_mul_lo_u32 v12, s18, v6
	v_sub_co_u32 v9, vcc_lo, v7, v9
	v_add3_u32 v10, v10, v12, v11
	v_sub_nc_u32_e32 v11, v8, v10
	v_subrev_co_ci_u32_e64 v11, s0, s19, v11, vcc_lo
	v_add_co_u32 v12, s0, v2, 2
	v_add_co_ci_u32_e64 v13, s0, 0, v6, s0
	v_sub_co_u32 v14, s0, v9, s18
	v_sub_co_ci_u32_e32 v10, vcc_lo, v8, v10, vcc_lo
	v_subrev_co_ci_u32_e64 v11, s0, 0, v11, s0
	v_cmp_le_u32_e32 vcc_lo, s18, v14
	v_cmp_eq_u32_e64 s0, s19, v10
	v_cndmask_b32_e64 v14, 0, -1, vcc_lo
	v_cmp_le_u32_e32 vcc_lo, s19, v11
	v_cndmask_b32_e64 v15, 0, -1, vcc_lo
	v_cmp_le_u32_e32 vcc_lo, s18, v9
	;; [unrolled: 2-line block ×3, first 2 shown]
	v_cndmask_b32_e64 v16, 0, -1, vcc_lo
	v_cmp_eq_u32_e32 vcc_lo, s19, v11
	v_cndmask_b32_e64 v9, v16, v9, s0
	v_cndmask_b32_e32 v11, v15, v14, vcc_lo
	v_add_co_u32 v14, vcc_lo, v2, 1
	v_add_co_ci_u32_e32 v15, vcc_lo, 0, v6, vcc_lo
	v_cmp_ne_u32_e32 vcc_lo, 0, v11
	v_cndmask_b32_e32 v10, v15, v13, vcc_lo
	v_cndmask_b32_e32 v11, v14, v12, vcc_lo
	v_cmp_ne_u32_e32 vcc_lo, 0, v9
	v_cndmask_b32_e32 v10, v6, v10, vcc_lo
	v_cndmask_b32_e32 v9, v2, v11, vcc_lo
.LBB0_4:                                ;   in Loop: Header=BB0_2 Depth=1
	s_andn2_saveexec_b32 s0, s1
	s_cbranch_execz .LBB0_6
; %bb.5:                                ;   in Loop: Header=BB0_2 Depth=1
	v_cvt_f32_u32_e32 v2, s18
	s_sub_i32 s1, 0, s18
	v_rcp_iflag_f32_e32 v2, v2
	v_mul_f32_e32 v2, 0x4f7ffffe, v2
	v_cvt_u32_f32_e32 v2, v2
	v_mul_lo_u32 v6, s1, v2
	v_mul_hi_u32 v6, v2, v6
	v_add_nc_u32_e32 v2, v2, v6
	v_mul_hi_u32 v2, v7, v2
	v_mul_lo_u32 v6, v2, s18
	v_add_nc_u32_e32 v9, 1, v2
	v_sub_nc_u32_e32 v6, v7, v6
	v_subrev_nc_u32_e32 v10, s18, v6
	v_cmp_le_u32_e32 vcc_lo, s18, v6
	v_cndmask_b32_e32 v6, v6, v10, vcc_lo
	v_cndmask_b32_e32 v2, v2, v9, vcc_lo
	v_mov_b32_e32 v10, v5
	v_cmp_le_u32_e32 vcc_lo, s18, v6
	v_add_nc_u32_e32 v9, 1, v2
	v_cndmask_b32_e32 v9, v2, v9, vcc_lo
.LBB0_6:                                ;   in Loop: Header=BB0_2 Depth=1
	s_or_b32 exec_lo, exec_lo, s0
	s_load_dwordx2 s[0:1], s[6:7], 0x0
	v_mul_lo_u32 v2, v10, s18
	v_mul_lo_u32 v6, v9, s19
	v_mad_u64_u32 v[11:12], null, v9, s18, 0
	s_add_u32 s16, s16, 1
	s_addc_u32 s17, s17, 0
	s_add_u32 s6, s6, 8
	s_addc_u32 s7, s7, 0
	;; [unrolled: 2-line block ×3, first 2 shown]
	v_add3_u32 v2, v12, v6, v2
	v_sub_co_u32 v6, vcc_lo, v7, v11
	v_sub_co_ci_u32_e32 v2, vcc_lo, v8, v2, vcc_lo
	s_waitcnt lgkmcnt(0)
	v_mul_lo_u32 v7, s1, v6
	v_mul_lo_u32 v2, s0, v2
	v_mad_u64_u32 v[3:4], null, s0, v6, v[3:4]
	v_cmp_ge_u64_e64 s0, s[16:17], s[10:11]
	s_and_b32 vcc_lo, exec_lo, s0
	v_add3_u32 v4, v7, v4, v2
	s_cbranch_vccnz .LBB0_8
; %bb.7:                                ;   in Loop: Header=BB0_2 Depth=1
	v_mov_b32_e32 v7, v9
	v_mov_b32_e32 v8, v10
	s_branch .LBB0_2
.LBB0_8:
	v_mul_hi_u32 v2, 0x24924925, v1
	s_lshl_b64 s[0:1], s[10:11], 3
	v_mul_hi_u32 v6, 0x1c71c71d, v0
	s_add_u32 s0, s12, s0
	s_addc_u32 s1, s13, s1
	s_load_dwordx2 s[4:5], s[4:5], 0x20
	s_load_dwordx2 s[0:1], s[0:1], 0x0
	v_sub_nc_u32_e32 v5, v1, v2
	v_mul_u32_u24_e32 v6, 9, v6
	v_lshrrev_b32_e32 v5, 1, v5
	v_sub_nc_u32_e32 v48, v0, v6
	v_add_nc_u32_e32 v2, v5, v2
	v_add_nc_u32_e32 v56, 9, v48
	;; [unrolled: 1-line block ×4, first 2 shown]
	v_lshrrev_b32_e32 v0, 2, v2
	s_waitcnt lgkmcnt(0)
	v_cmp_gt_u64_e32 vcc_lo, s[4:5], v[9:10]
	v_mul_lo_u32 v5, s0, v10
	v_mul_lo_u32 v6, s1, v9
	v_mad_u64_u32 v[2:3], null, s0, v9, v[3:4]
	v_mul_lo_u32 v0, v0, 7
	v_cmp_le_u64_e64 s0, s[4:5], v[9:10]
	v_add3_u32 v3, v6, v3, v5
	v_sub_nc_u32_e32 v0, v1, v0
	s_and_saveexec_b32 s1, s0
	s_xor_b32 s0, exec_lo, s1
; %bb.9:
	v_add_nc_u32_e32 v56, 9, v48
	v_add_nc_u32_e32 v54, 18, v48
	;; [unrolled: 1-line block ×3, first 2 shown]
; %bb.10:
	s_or_saveexec_b32 s1, s0
	v_mul_u32_u24_e32 v0, 0x5b, v0
	v_lshlrev_b64 v[50:51], 4, v[2:3]
	v_lshlrev_b32_e32 v53, 4, v48
	v_lshlrev_b32_e32 v55, 4, v0
	s_xor_b32 exec_lo, exec_lo, s1
	s_cbranch_execz .LBB0_12
; %bb.11:
	v_mov_b32_e32 v49, 0
	v_add_co_u32 v2, s0, s2, v50
	v_add_co_ci_u32_e64 v3, s0, s3, v51, s0
	v_lshlrev_b64 v[0:1], 4, v[48:49]
	v_add3_u32 v40, 0, v55, v53
	v_add_co_u32 v36, s0, v2, v0
	v_add_co_ci_u32_e64 v37, s0, v3, v1, s0
	s_clause 0x9
	global_load_dwordx4 v[0:3], v[36:37], off
	global_load_dwordx4 v[4:7], v[36:37], off offset:144
	global_load_dwordx4 v[8:11], v[36:37], off offset:288
	;; [unrolled: 1-line block ×9, first 2 shown]
	s_waitcnt vmcnt(9)
	ds_write_b128 v40, v[0:3]
	s_waitcnt vmcnt(8)
	ds_write_b128 v40, v[4:7] offset:144
	s_waitcnt vmcnt(7)
	ds_write_b128 v40, v[8:11] offset:288
	;; [unrolled: 2-line block ×9, first 2 shown]
.LBB0_12:
	s_or_b32 exec_lo, exec_lo, s1
	v_add3_u32 v49, 0, v53, v55
	s_waitcnt lgkmcnt(0)
	s_barrier
	buffer_gl0_inv
	v_add_nc_u32_e32 v59, 0, v55
	ds_read_b128 v[4:7], v49 offset:960
	ds_read_b128 v[0:3], v49 offset:480
	;; [unrolled: 1-line block ×10, first 2 shown]
	s_mov_b32 s0, 0xe8584caa
	s_mov_b32 s1, 0xbfebb67a
	v_add_nc_u32_e32 v58, v59, v53
	ds_read_b128 v[40:43], v58
	ds_read_b128 v[44:47], v49 offset:144
	s_mov_b32 s5, 0x3febb67a
	s_mov_b32 s4, s0
	s_waitcnt lgkmcnt(0)
	s_barrier
	buffer_gl0_inv
	v_add_f64 v[68:69], v[16:17], v[20:21]
	v_add_f64 v[60:61], v[0:1], v[4:5]
	;; [unrolled: 1-line block ×12, first 2 shown]
	v_add_f64 v[86:87], v[2:3], -v[6:7]
	v_add_f64 v[88:89], v[40:41], v[0:1]
	v_add_f64 v[90:91], v[42:43], v[2:3]
	;; [unrolled: 1-line block ×4, first 2 shown]
	v_add_f64 v[10:11], v[10:11], -v[14:15]
	v_add_f64 v[8:9], v[8:9], -v[12:13]
	;; [unrolled: 1-line block ×3, first 2 shown]
	v_fma_f64 v[40:41], v[60:61], -0.5, v[40:41]
	v_add_f64 v[60:61], v[0:1], -v[4:5]
	v_fma_f64 v[42:43], v[62:63], -0.5, v[42:43]
	v_fma_f64 v[44:45], v[64:65], -0.5, v[44:45]
	;; [unrolled: 1-line block ×3, first 2 shown]
	v_add_f64 v[62:63], v[16:17], -v[20:21]
	v_fma_f64 v[64:65], v[68:69], -0.5, v[24:25]
	v_add_f64 v[66:67], v[34:35], -v[38:39]
	v_fma_f64 v[68:69], v[72:73], -0.5, v[26:27]
	;; [unrolled: 2-line block ×3, first 2 shown]
	v_add_f64 v[16:17], v[70:71], v[20:21]
	v_fma_f64 v[70:71], v[80:81], -0.5, v[30:31]
	v_add_f64 v[18:19], v[74:75], v[22:23]
	v_add_f64 v[0:1], v[78:79], v[36:37]
	v_add_f64 v[2:3], v[82:83], v[38:39]
	v_add_f64 v[20:21], v[88:89], v[4:5]
	v_add_f64 v[22:23], v[90:91], v[6:7]
	v_add_f64 v[24:25], v[92:93], v[12:13]
	v_add_f64 v[26:27], v[94:95], v[14:15]
	v_mad_i32_i24 v12, v56, 48, 0
	v_mad_i32_i24 v13, v54, 48, 0
	v_fma_f64 v[28:29], v[86:87], s[0:1], v[40:41]
	v_fma_f64 v[32:33], v[86:87], s[4:5], v[40:41]
	;; [unrolled: 1-line block ×16, first 2 shown]
	v_cmp_gt_u32_e64 s0, 3, v48
	v_lshl_add_u32 v14, v48, 5, v49
	v_add_nc_u32_e32 v15, v12, v55
	v_add_nc_u32_e32 v57, v13, v55
	ds_write_b128 v14, v[20:23]
	ds_write_b128 v14, v[28:31] offset:16
	ds_write_b128 v14, v[32:35] offset:32
	ds_write_b128 v15, v[24:27]
	ds_write_b128 v15, v[36:39] offset:16
	ds_write_b128 v15, v[40:43] offset:32
	;; [unrolled: 3-line block ×3, first 2 shown]
	s_and_saveexec_b32 s1, s0
	s_cbranch_execz .LBB0_14
; %bb.13:
	v_mul_i32_i24_e32 v14, 48, v52
	v_add3_u32 v14, 0, v14, v55
	ds_write_b128 v14, v[0:3]
	ds_write_b128 v14, v[4:7] offset:16
	ds_write_b128 v14, v[8:11] offset:32
.LBB0_14:
	s_or_b32 exec_lo, exec_lo, s1
	v_lshlrev_b32_e32 v15, 5, v54
	v_lshlrev_b32_e32 v14, 5, v56
	s_waitcnt lgkmcnt(0)
	s_barrier
	buffer_gl0_inv
	v_sub_nc_u32_e32 v17, v13, v15
	v_sub_nc_u32_e32 v16, v12, v14
	ds_read_b128 v[12:15], v58
	ds_read_b128 v[32:35], v49 offset:480
	v_lshlrev_b32_e32 v61, 4, v52
	v_add_nc_u32_e32 v60, v17, v55
	v_add_nc_u32_e32 v57, v16, v55
	ds_read_b128 v[44:47], v49 offset:960
	ds_read_b128 v[24:27], v49 offset:1104
	;; [unrolled: 1-line block ×4, first 2 shown]
	ds_read_b128 v[16:19], v60
	ds_read_b128 v[20:23], v57
	ds_read_b128 v[40:43], v49 offset:1248
	s_and_saveexec_b32 s1, s0
	s_cbranch_execz .LBB0_16
; %bb.15:
	v_add3_u32 v0, 0, v61, v55
	ds_read_b128 v[0:3], v0
	ds_read_b128 v[4:7], v49 offset:912
	ds_read_b128 v[8:11], v49 offset:1392
.LBB0_16:
	s_or_b32 exec_lo, exec_lo, s1
	v_and_b32_e32 v62, 0xff, v48
	v_and_b32_e32 v63, 0xff, v56
	;; [unrolled: 1-line block ×3, first 2 shown]
	s_mov_b32 s4, 0xe8584caa
	s_mov_b32 s5, 0xbfebb67a
	v_mul_lo_u16 v62, 0xab, v62
	v_mul_lo_u16 v63, 0xab, v63
	;; [unrolled: 1-line block ×3, first 2 shown]
	s_mov_b32 s7, 0x3febb67a
	s_mov_b32 s6, s4
	v_lshrrev_b16 v99, 9, v62
	v_lshrrev_b16 v100, 9, v63
	;; [unrolled: 1-line block ×3, first 2 shown]
	v_mov_b32_e32 v62, 5
	v_mul_lo_u16 v63, v99, 3
	v_mul_lo_u16 v64, v100, 3
	v_sub_nc_u16 v102, v48, v63
	v_mul_lo_u16 v63, v101, 3
	v_sub_nc_u16 v103, v56, v64
	v_lshlrev_b32_sdwa v67, v62, v102 dst_sel:DWORD dst_unused:UNUSED_PAD src0_sel:DWORD src1_sel:BYTE_0
	v_sub_nc_u16 v104, v54, v63
	v_lshlrev_b32_sdwa v75, v62, v103 dst_sel:DWORD dst_unused:UNUSED_PAD src0_sel:DWORD src1_sel:BYTE_0
	s_clause 0x1
	global_load_dwordx4 v[63:66], v67, s[8:9]
	global_load_dwordx4 v[67:70], v67, s[8:9] offset:16
	v_lshlrev_b32_sdwa v83, v62, v104 dst_sel:DWORD dst_unused:UNUSED_PAD src0_sel:DWORD src1_sel:BYTE_0
	s_clause 0x3
	global_load_dwordx4 v[71:74], v75, s[8:9]
	global_load_dwordx4 v[75:78], v75, s[8:9] offset:16
	global_load_dwordx4 v[79:82], v83, s[8:9]
	global_load_dwordx4 v[83:86], v83, s[8:9] offset:16
	s_waitcnt vmcnt(0) lgkmcnt(0)
	s_barrier
	buffer_gl0_inv
	v_mul_f64 v[87:88], v[34:35], v[65:66]
	v_mul_f64 v[89:90], v[46:47], v[69:70]
	;; [unrolled: 1-line block ×12, first 2 shown]
	v_fma_f64 v[32:33], v[32:33], v[63:64], v[87:88]
	v_fma_f64 v[44:45], v[44:45], v[67:68], v[89:90]
	v_fma_f64 v[34:35], v[34:35], v[63:64], -v[65:66]
	v_fma_f64 v[46:47], v[46:47], v[67:68], -v[69:70]
	v_fma_f64 v[36:37], v[36:37], v[71:72], v[91:92]
	v_fma_f64 v[24:25], v[24:25], v[75:76], v[93:94]
	v_fma_f64 v[38:39], v[38:39], v[71:72], -v[73:74]
	v_fma_f64 v[26:27], v[26:27], v[75:76], -v[77:78]
	;; [unrolled: 4-line block ×3, first 2 shown]
	v_and_b32_e32 v93, 0xffff, v99
	v_and_b32_e32 v94, 0xffff, v100
	v_add_f64 v[75:76], v[12:13], v[32:33]
	v_add_f64 v[63:64], v[32:33], v[44:45]
	v_add_f64 v[32:33], v[32:33], -v[44:45]
	v_add_f64 v[65:66], v[34:35], v[46:47]
	v_add_f64 v[77:78], v[34:35], -v[46:47]
	v_add_f64 v[67:68], v[36:37], v[24:25]
	v_add_f64 v[34:35], v[14:15], v[34:35]
	;; [unrolled: 1-line block ×7, first 2 shown]
	v_add_f64 v[38:39], v[38:39], -v[26:27]
	v_add_f64 v[87:88], v[36:37], -v[24:25]
	v_add_f64 v[83:84], v[16:17], v[28:29]
	v_add_f64 v[85:86], v[18:19], v[30:31]
	v_add_f64 v[89:90], v[30:31], -v[42:43]
	v_add_f64 v[91:92], v[28:29], -v[40:41]
	v_fma_f64 v[63:64], v[63:64], -0.5, v[12:13]
	v_mov_b32_e32 v12, 4
	v_fma_f64 v[65:66], v[65:66], -0.5, v[14:15]
	v_add_f64 v[13:14], v[75:76], v[44:45]
	v_fma_f64 v[67:68], v[67:68], -0.5, v[20:21]
	v_and_b32_e32 v45, 0xffff, v101
	v_fma_f64 v[69:70], v[69:70], -0.5, v[22:23]
	v_fma_f64 v[71:72], v[71:72], -0.5, v[16:17]
	v_add_f64 v[15:16], v[34:35], v[46:47]
	v_fma_f64 v[73:74], v[73:74], -0.5, v[18:19]
	v_add_f64 v[17:18], v[79:80], v[24:25]
	v_add_f64 v[19:20], v[81:82], v[26:27]
	;; [unrolled: 1-line block ×4, first 2 shown]
	v_mad_u32_u24 v46, 0x90, v93, 0
	v_mad_u32_u24 v47, 0x90, v94, 0
	;; [unrolled: 1-line block ×3, first 2 shown]
	v_fma_f64 v[25:26], v[77:78], s[4:5], v[63:64]
	v_fma_f64 v[29:30], v[77:78], s[6:7], v[63:64]
	v_fma_f64 v[27:28], v[32:33], s[6:7], v[65:66]
	v_fma_f64 v[31:32], v[32:33], s[4:5], v[65:66]
	v_fma_f64 v[33:34], v[38:39], s[4:5], v[67:68]
	v_fma_f64 v[37:38], v[38:39], s[6:7], v[67:68]
	v_fma_f64 v[35:36], v[87:88], s[6:7], v[69:70]
	v_fma_f64 v[39:40], v[87:88], s[4:5], v[69:70]
	v_fma_f64 v[41:42], v[89:90], s[4:5], v[71:72]
	v_fma_f64 v[63:64], v[89:90], s[6:7], v[71:72]
	v_fma_f64 v[43:44], v[91:92], s[6:7], v[73:74]
	v_fma_f64 v[65:66], v[91:92], s[4:5], v[73:74]
	v_lshlrev_b32_sdwa v67, v12, v102 dst_sel:DWORD dst_unused:UNUSED_PAD src0_sel:DWORD src1_sel:BYTE_0
	v_lshlrev_b32_sdwa v68, v12, v103 dst_sel:DWORD dst_unused:UNUSED_PAD src0_sel:DWORD src1_sel:BYTE_0
	;; [unrolled: 1-line block ×3, first 2 shown]
	v_add3_u32 v46, v46, v67, v55
	v_add3_u32 v47, v47, v68, v55
	;; [unrolled: 1-line block ×3, first 2 shown]
	ds_write_b128 v46, v[13:16]
	ds_write_b128 v46, v[25:28] offset:48
	ds_write_b128 v46, v[29:32] offset:96
	ds_write_b128 v47, v[17:20]
	ds_write_b128 v47, v[33:36] offset:48
	ds_write_b128 v47, v[37:40] offset:96
	;; [unrolled: 3-line block ×3, first 2 shown]
	s_and_saveexec_b32 s1, s0
	s_cbranch_execz .LBB0_18
; %bb.17:
	v_and_b32_e32 v13, 0xff, v52
	v_mul_lo_u16 v13, 0xab, v13
	v_lshrrev_b16 v13, 9, v13
	v_mul_lo_u16 v13, v13, 3
	v_sub_nc_u16 v25, v52, v13
	v_lshlrev_b32_sdwa v17, v62, v25 dst_sel:DWORD dst_unused:UNUSED_PAD src0_sel:DWORD src1_sel:BYTE_0
	v_lshlrev_b32_sdwa v12, v12, v25 dst_sel:DWORD dst_unused:UNUSED_PAD src0_sel:DWORD src1_sel:BYTE_0
	s_clause 0x1
	global_load_dwordx4 v[13:16], v17, s[8:9]
	global_load_dwordx4 v[17:20], v17, s[8:9] offset:16
	v_add3_u32 v12, 0, v12, v55
	s_waitcnt vmcnt(1)
	v_mul_f64 v[21:22], v[4:5], v[15:16]
	s_waitcnt vmcnt(0)
	v_mul_f64 v[23:24], v[8:9], v[19:20]
	v_mul_f64 v[15:16], v[6:7], v[15:16]
	;; [unrolled: 1-line block ×3, first 2 shown]
	v_fma_f64 v[6:7], v[6:7], v[13:14], -v[21:22]
	v_fma_f64 v[10:11], v[10:11], v[17:18], -v[23:24]
	v_fma_f64 v[4:5], v[4:5], v[13:14], v[15:16]
	v_fma_f64 v[8:9], v[8:9], v[17:18], v[19:20]
	v_add_f64 v[19:20], v[2:3], v[6:7]
	v_add_f64 v[13:14], v[6:7], v[10:11]
	v_add_f64 v[21:22], v[6:7], -v[10:11]
	v_add_f64 v[15:16], v[4:5], v[8:9]
	v_add_f64 v[17:18], v[4:5], -v[8:9]
	v_add_f64 v[4:5], v[0:1], v[4:5]
	v_fma_f64 v[13:14], v[13:14], -0.5, v[2:3]
	v_add_f64 v[2:3], v[19:20], v[10:11]
	v_fma_f64 v[15:16], v[15:16], -0.5, v[0:1]
	v_add_f64 v[0:1], v[4:5], v[8:9]
	v_fma_f64 v[10:11], v[17:18], s[6:7], v[13:14]
	v_fma_f64 v[6:7], v[17:18], s[4:5], v[13:14]
	;; [unrolled: 1-line block ×4, first 2 shown]
	ds_write_b128 v12, v[0:3] offset:1296
	ds_write_b128 v12, v[8:11] offset:1344
	;; [unrolled: 1-line block ×3, first 2 shown]
.LBB0_18:
	s_or_b32 exec_lo, exec_lo, s1
	v_mul_u32_u24_e32 v0, 9, v48
	s_waitcnt lgkmcnt(0)
	s_barrier
	buffer_gl0_inv
	v_add3_u32 v40, 0, v61, v55
	v_lshlrev_b32_e32 v32, 4, v0
	s_mov_b32 s6, 0x134454ff
	s_mov_b32 s7, 0xbfee6f0e
	;; [unrolled: 1-line block ×4, first 2 shown]
	s_clause 0x8
	global_load_dwordx4 v[0:3], v32, s[8:9] offset:112
	global_load_dwordx4 v[4:7], v32, s[8:9] offset:128
	;; [unrolled: 1-line block ×9, first 2 shown]
	ds_read_b128 v[36:39], v60
	ds_read_b128 v[40:43], v40
	ds_read_b128 v[44:47], v49 offset:720
	ds_read_b128 v[60:63], v49 offset:1008
	;; [unrolled: 1-line block ×6, first 2 shown]
	ds_read_b128 v[80:83], v57
	ds_read_b128 v[84:87], v58
	s_mov_b32 s10, 0x4755a5e
	s_mov_b32 s11, 0xbfe2cf23
	;; [unrolled: 1-line block ×12, first 2 shown]
	s_waitcnt vmcnt(0) lgkmcnt(0)
	s_barrier
	buffer_gl0_inv
	v_mul_f64 v[88:89], v[38:39], v[2:3]
	v_mul_f64 v[2:3], v[36:37], v[2:3]
	;; [unrolled: 1-line block ×14, first 2 shown]
	v_fma_f64 v[36:37], v[36:37], v[0:1], v[88:89]
	v_fma_f64 v[0:1], v[38:39], v[0:1], -v[2:3]
	v_mul_f64 v[2:3], v[62:63], v[14:15]
	v_mul_f64 v[14:15], v[66:67], v[18:19]
	;; [unrolled: 1-line block ×3, first 2 shown]
	v_fma_f64 v[38:39], v[42:43], v[4:5], -v[90:91]
	v_fma_f64 v[42:43], v[46:47], v[8:9], -v[92:93]
	;; [unrolled: 1-line block ×4, first 2 shown]
	v_fma_f64 v[4:5], v[40:41], v[4:5], v[6:7]
	v_mul_f64 v[6:7], v[82:83], v[34:35]
	v_fma_f64 v[8:9], v[44:45], v[8:9], v[10:11]
	v_fma_f64 v[34:35], v[68:69], v[20:21], v[98:99]
	v_fma_f64 v[20:21], v[70:71], v[20:21], -v[22:23]
	v_fma_f64 v[22:23], v[72:73], v[24:25], v[100:101]
	v_fma_f64 v[40:41], v[78:79], v[28:29], -v[102:103]
	v_fma_f64 v[24:25], v[74:75], v[24:25], -v[26:27]
	v_add_f64 v[26:27], v[84:85], v[36:37]
	v_add_f64 v[78:79], v[86:87], v[0:1]
	v_fma_f64 v[2:3], v[60:61], v[12:13], v[2:3]
	v_fma_f64 v[10:11], v[64:65], v[16:17], v[14:15]
	v_fma_f64 v[12:13], v[82:83], v[32:33], -v[18:19]
	v_fma_f64 v[14:15], v[76:77], v[28:29], v[30:31]
	v_add_f64 v[90:91], v[38:39], -v[42:43]
	v_add_f64 v[16:17], v[42:43], v[46:47]
	v_add_f64 v[18:19], v[38:39], v[62:63]
	v_add_f64 v[88:89], v[38:39], -v[62:63]
	v_fma_f64 v[6:7], v[80:81], v[32:33], v[6:7]
	v_add_f64 v[92:93], v[62:63], -v[46:47]
	v_add_f64 v[44:45], v[36:37], -v[34:35]
	;; [unrolled: 1-line block ×3, first 2 shown]
	v_add_f64 v[28:29], v[34:35], v[22:23]
	v_add_f64 v[82:83], v[0:1], v[40:41]
	;; [unrolled: 1-line block ×3, first 2 shown]
	v_add_f64 v[98:99], v[42:43], -v[46:47]
	v_add_f64 v[96:97], v[46:47], -v[62:63]
	;; [unrolled: 1-line block ×7, first 2 shown]
	v_add_f64 v[60:61], v[8:9], v[2:3]
	v_add_f64 v[64:65], v[4:5], v[10:11]
	v_add_f64 v[66:67], v[4:5], -v[10:11]
	v_add_f64 v[68:69], v[8:9], -v[2:3]
	;; [unrolled: 1-line block ×3, first 2 shown]
	v_fma_f64 v[16:17], v[16:17], -0.5, v[12:13]
	v_fma_f64 v[18:19], v[18:19], -0.5, v[12:13]
	v_add_f64 v[72:73], v[36:37], v[14:15]
	v_add_f64 v[100:101], v[6:7], v[4:5]
	;; [unrolled: 1-line block ×3, first 2 shown]
	v_add_f64 v[76:77], v[22:23], -v[14:15]
	v_add_f64 v[36:37], v[36:37], -v[14:15]
	;; [unrolled: 1-line block ×5, first 2 shown]
	v_fma_f64 v[28:29], v[28:29], -0.5, v[84:85]
	v_fma_f64 v[80:81], v[80:81], -0.5, v[86:87]
	;; [unrolled: 1-line block ×3, first 2 shown]
	v_add_f64 v[26:27], v[26:27], v[34:35]
	v_add_f64 v[110:111], v[0:1], -v[20:21]
	v_add_f64 v[0:1], v[20:21], -v[0:1]
	v_add_f64 v[20:21], v[78:79], v[20:21]
	v_fma_f64 v[60:61], v[60:61], -0.5, v[6:7]
	v_fma_f64 v[6:7], v[64:65], -0.5, v[6:7]
	v_add_f64 v[112:113], v[40:41], -v[24:25]
	v_add_f64 v[34:35], v[44:45], v[70:71]
	v_fma_f64 v[38:39], v[66:67], s[4:5], v[16:17]
	v_fma_f64 v[64:65], v[68:69], s[6:7], v[18:19]
	;; [unrolled: 1-line block ×4, first 2 shown]
	v_fma_f64 v[72:73], v[72:73], -0.5, v[84:85]
	v_add_f64 v[44:45], v[90:91], v[92:93]
	v_add_f64 v[70:71], v[94:95], v[96:97]
	v_add_f64 v[8:9], v[100:101], v[8:9]
	v_add_f64 v[12:13], v[12:13], v[42:43]
	v_add_f64 v[4:5], v[4:5], v[106:107]
	v_fma_f64 v[42:43], v[30:31], s[6:7], v[28:29]
	v_fma_f64 v[28:29], v[30:31], s[4:5], v[28:29]
	v_add_f64 v[84:85], v[24:25], -v[40:41]
	v_fma_f64 v[78:79], v[36:37], s[6:7], v[80:81]
	v_add_f64 v[22:23], v[26:27], v[22:23]
	v_add_f64 v[20:21], v[20:21], v[24:25]
	v_fma_f64 v[86:87], v[88:89], s[6:7], v[60:61]
	v_fma_f64 v[60:61], v[88:89], s[4:5], v[60:61]
	;; [unrolled: 1-line block ×8, first 2 shown]
	v_add_f64 v[66:67], v[74:75], v[76:77]
	v_add_f64 v[68:69], v[102:103], v[104:105]
	v_fma_f64 v[74:75], v[32:33], s[4:5], v[72:73]
	v_fma_f64 v[72:73], v[32:33], s[6:7], v[72:73]
	;; [unrolled: 1-line block ×5, first 2 shown]
	v_add_f64 v[2:3], v[8:9], v[2:3]
	v_add_f64 v[8:9], v[12:13], v[46:47]
	v_fma_f64 v[12:13], v[32:33], s[10:11], v[42:43]
	v_fma_f64 v[24:25], v[32:33], s[12:13], v[28:29]
	v_add_f64 v[0:1], v[0:1], v[84:85]
	v_fma_f64 v[32:33], v[108:109], s[10:11], v[78:79]
	v_fma_f64 v[86:87], v[98:99], s[10:11], v[86:87]
	;; [unrolled: 1-line block ×5, first 2 shown]
	v_add_f64 v[14:15], v[22:23], v[14:15]
	v_fma_f64 v[38:39], v[44:45], s[0:1], v[38:39]
	v_fma_f64 v[64:65], v[70:71], s[0:1], v[64:65]
	;; [unrolled: 1-line block ×4, first 2 shown]
	v_add_f64 v[44:45], v[110:111], v[112:113]
	v_add_f64 v[20:21], v[20:21], v[40:41]
	v_fma_f64 v[26:27], v[30:31], s[10:11], v[74:75]
	v_fma_f64 v[28:29], v[30:31], s[12:13], v[72:73]
	;; [unrolled: 1-line block ×5, first 2 shown]
	v_add_f64 v[10:11], v[2:3], v[10:11]
	v_add_f64 v[8:9], v[8:9], v[62:63]
	v_fma_f64 v[40:41], v[34:35], s[0:1], v[12:13]
	v_fma_f64 v[34:35], v[34:35], s[0:1], v[24:25]
	;; [unrolled: 1-line block ×6, first 2 shown]
	v_mul_f64 v[6:7], v[38:39], s[10:11]
	v_mul_f64 v[38:39], v[38:39], s[14:15]
	;; [unrolled: 1-line block ×8, first 2 shown]
	v_fma_f64 v[30:31], v[44:45], s[0:1], v[30:31]
	v_fma_f64 v[26:27], v[66:67], s[0:1], v[26:27]
	;; [unrolled: 1-line block ×6, first 2 shown]
	v_add_f64 v[0:1], v[14:15], v[10:11]
	v_add_f64 v[2:3], v[20:21], v[8:9]
	v_fma_f64 v[24:25], v[46:47], s[14:15], v[6:7]
	v_fma_f64 v[38:39], v[46:47], s[12:13], v[38:39]
	;; [unrolled: 1-line block ×8, first 2 shown]
	v_add_f64 v[4:5], v[14:15], -v[10:11]
	v_add_f64 v[6:7], v[20:21], -v[8:9]
	s_mov_b32 s1, exec_lo
	v_add_f64 v[8:9], v[40:41], v[24:25]
	v_add_f64 v[10:11], v[30:31], v[38:39]
	;; [unrolled: 1-line block ×8, first 2 shown]
	v_add_f64 v[24:25], v[40:41], -v[24:25]
	v_add_f64 v[28:29], v[26:27], -v[28:29]
	;; [unrolled: 1-line block ×8, first 2 shown]
	ds_write_b128 v49, v[0:3]
	ds_write_b128 v49, v[4:7] offset:720
	ds_write_b128 v49, v[8:11] offset:144
	;; [unrolled: 1-line block ×9, first 2 shown]
	s_waitcnt lgkmcnt(0)
	s_barrier
	buffer_gl0_inv
	ds_read_b128 v[4:7], v58
	v_sub_nc_u32_e32 v14, v59, v53
                                        ; implicit-def: $vgpr0_vgpr1
                                        ; implicit-def: $vgpr10_vgpr11
                                        ; implicit-def: $vgpr12_vgpr13
                                        ; implicit-def: $vgpr8_vgpr9
	v_cmpx_ne_u32_e32 0, v48
	s_xor_b32 s1, exec_lo, s1
	s_cbranch_execz .LBB0_20
; %bb.19:
	v_mov_b32_e32 v49, 0
	v_lshlrev_b64 v[0:1], 4, v[48:49]
	v_add_co_u32 v0, s0, s8, v0
	v_add_co_ci_u32_e64 v1, s0, s9, v1, s0
	global_load_dwordx4 v[8:11], v[0:1], off offset:1392
	ds_read_b128 v[0:3], v14 offset:1440
	s_waitcnt lgkmcnt(0)
	v_add_f64 v[12:13], v[4:5], -v[0:1]
	v_add_f64 v[15:16], v[6:7], v[2:3]
	v_add_f64 v[2:3], v[6:7], -v[2:3]
	v_add_f64 v[0:1], v[4:5], v[0:1]
	v_mul_f64 v[6:7], v[12:13], 0.5
	v_mul_f64 v[4:5], v[15:16], 0.5
	;; [unrolled: 1-line block ×3, first 2 shown]
	s_waitcnt vmcnt(0)
	v_mul_f64 v[12:13], v[6:7], v[10:11]
	v_fma_f64 v[15:16], v[4:5], v[10:11], v[2:3]
	v_fma_f64 v[2:3], v[4:5], v[10:11], -v[2:3]
	v_fma_f64 v[17:18], v[0:1], 0.5, v[12:13]
	v_fma_f64 v[0:1], v[0:1], 0.5, -v[12:13]
	v_fma_f64 v[12:13], -v[8:9], v[6:7], v[15:16]
	v_fma_f64 v[2:3], -v[8:9], v[6:7], v[2:3]
	v_fma_f64 v[10:11], v[4:5], v[8:9], v[17:18]
	v_fma_f64 v[0:1], -v[4:5], v[8:9], v[0:1]
	v_mov_b32_e32 v8, v48
	v_mov_b32_e32 v9, v49
                                        ; implicit-def: $vgpr4_vgpr5
.LBB0_20:
	s_andn2_saveexec_b32 s0, s1
	s_cbranch_execz .LBB0_22
; %bb.21:
	ds_read_b64 v[15:16], v59 offset:728
	s_waitcnt lgkmcnt(1)
	v_add_f64 v[10:11], v[4:5], v[6:7]
	v_add_f64 v[0:1], v[4:5], -v[6:7]
	v_mov_b32_e32 v12, 0
	v_mov_b32_e32 v13, 0
	;; [unrolled: 1-line block ×6, first 2 shown]
	s_waitcnt lgkmcnt(0)
	v_xor_b32_e32 v16, 0x80000000, v16
	ds_write_b64 v59, v[15:16] offset:728
.LBB0_22:
	s_or_b32 exec_lo, exec_lo, s0
	v_mov_b32_e32 v57, 0
	v_lshl_add_u32 v29, v56, 4, v59
	ds_write2_b64 v58, v[10:11], v[12:13] offset1:1
	ds_write_b128 v14, v[0:3] offset:1440
	s_waitcnt lgkmcnt(2)
	v_lshlrev_b64 v[4:5], 4, v[56:57]
	v_mov_b32_e32 v55, v57
	v_mov_b32_e32 v53, v57
	v_lshlrev_b64 v[15:16], 4, v[54:55]
	v_add_co_u32 v4, s0, s8, v4
	v_add_co_ci_u32_e64 v5, s0, s9, v5, s0
	v_lshlrev_b64 v[19:20], 4, v[52:53]
	v_add_co_u32 v15, s0, s8, v15
	global_load_dwordx4 v[4:7], v[4:5], off offset:1392
	v_add_co_ci_u32_e64 v16, s0, s9, v16, s0
	v_add_co_u32 v19, s0, s8, v19
	v_add_co_ci_u32_e64 v20, s0, s9, v20, s0
	global_load_dwordx4 v[15:18], v[15:16], off offset:1392
	ds_read_b128 v[0:3], v29
	ds_read_b128 v[10:13], v14 offset:1296
	s_add_u32 s0, s8, 0x570
	global_load_dwordx4 v[19:22], v[19:20], off offset:1392
	s_addc_u32 s1, s9, 0
	s_waitcnt lgkmcnt(0)
	v_add_f64 v[23:24], v[0:1], -v[10:11]
	v_add_f64 v[25:26], v[2:3], v[12:13]
	v_add_f64 v[2:3], v[2:3], -v[12:13]
	v_add_f64 v[0:1], v[0:1], v[10:11]
	v_mul_f64 v[12:13], v[23:24], 0.5
	v_mul_f64 v[23:24], v[25:26], 0.5
	v_mul_f64 v[2:3], v[2:3], 0.5
	s_waitcnt vmcnt(2)
	v_mul_f64 v[10:11], v[12:13], v[6:7]
	v_fma_f64 v[25:26], v[23:24], v[6:7], v[2:3]
	v_fma_f64 v[2:3], v[23:24], v[6:7], -v[2:3]
	v_fma_f64 v[27:28], v[0:1], 0.5, v[10:11]
	v_fma_f64 v[0:1], v[0:1], 0.5, -v[10:11]
	v_fma_f64 v[10:11], -v[4:5], v[12:13], v[25:26]
	v_fma_f64 v[6:7], -v[4:5], v[12:13], v[2:3]
	v_fma_f64 v[2:3], v[23:24], v[4:5], v[27:28]
	v_fma_f64 v[4:5], -v[23:24], v[4:5], v[0:1]
	v_lshlrev_b64 v[0:1], 4, v[8:9]
	v_lshl_add_u32 v27, v54, 4, v59
	ds_write2_b64 v29, v[2:3], v[10:11] offset1:1
	ds_write_b128 v14, v[4:7] offset:1296
	v_add_co_u32 v10, s0, s0, v0
	ds_read_b128 v[2:5], v27
	ds_read_b128 v[6:9], v14 offset:1152
	v_add_co_ci_u32_e64 v11, s0, s1, v1, s0
	global_load_dwordx4 v[10:13], v[10:11], off offset:576
	s_waitcnt lgkmcnt(0)
	v_add_f64 v[23:24], v[2:3], -v[6:7]
	v_add_f64 v[25:26], v[4:5], v[8:9]
	v_add_f64 v[4:5], v[4:5], -v[8:9]
	v_add_f64 v[2:3], v[2:3], v[6:7]
	v_mul_f64 v[8:9], v[23:24], 0.5
	v_mul_f64 v[23:24], v[25:26], 0.5
	;; [unrolled: 1-line block ×3, first 2 shown]
	s_waitcnt vmcnt(2)
	v_mul_f64 v[6:7], v[8:9], v[17:18]
	v_fma_f64 v[25:26], v[23:24], v[17:18], v[4:5]
	v_fma_f64 v[4:5], v[23:24], v[17:18], -v[4:5]
	v_fma_f64 v[17:18], v[2:3], 0.5, v[6:7]
	v_fma_f64 v[2:3], v[2:3], 0.5, -v[6:7]
	v_fma_f64 v[6:7], -v[15:16], v[8:9], v[25:26]
	v_fma_f64 v[4:5], -v[15:16], v[8:9], v[4:5]
	v_fma_f64 v[8:9], v[23:24], v[15:16], v[17:18]
	v_fma_f64 v[2:3], -v[23:24], v[15:16], v[2:3]
	v_xor_b32_e32 v15, 63, v48
	v_lshl_add_u32 v23, v52, 4, v59
	ds_write2_b64 v27, v[8:9], v[6:7] offset1:1
	ds_write_b128 v14, v[2:5] offset:1152
	v_lshl_add_u32 v24, v15, 4, v59
	ds_read_b128 v[2:5], v23
	ds_read_b128 v[6:9], v24
	s_waitcnt lgkmcnt(0)
	v_add_f64 v[15:16], v[2:3], -v[6:7]
	v_add_f64 v[17:18], v[4:5], v[8:9]
	v_add_f64 v[4:5], v[4:5], -v[8:9]
	v_add_f64 v[2:3], v[2:3], v[6:7]
	v_mul_f64 v[8:9], v[15:16], 0.5
	v_mul_f64 v[15:16], v[17:18], 0.5
	;; [unrolled: 1-line block ×3, first 2 shown]
	s_waitcnt vmcnt(1)
	v_mul_f64 v[6:7], v[8:9], v[21:22]
	v_fma_f64 v[17:18], v[15:16], v[21:22], v[4:5]
	v_fma_f64 v[4:5], v[15:16], v[21:22], -v[4:5]
	v_fma_f64 v[21:22], v[2:3], 0.5, v[6:7]
	v_fma_f64 v[2:3], v[2:3], 0.5, -v[6:7]
	v_fma_f64 v[6:7], -v[19:20], v[8:9], v[17:18]
	v_fma_f64 v[4:5], -v[19:20], v[8:9], v[4:5]
	v_fma_f64 v[8:9], v[15:16], v[19:20], v[21:22]
	v_fma_f64 v[2:3], -v[15:16], v[19:20], v[2:3]
	ds_write2_b64 v23, v[8:9], v[6:7] offset1:1
	ds_write_b128 v24, v[2:5]
	ds_read_b128 v[2:5], v58 offset:576
	ds_read_b128 v[6:9], v14 offset:864
	s_waitcnt lgkmcnt(0)
	v_add_f64 v[15:16], v[2:3], -v[6:7]
	v_add_f64 v[17:18], v[4:5], v[8:9]
	v_add_f64 v[4:5], v[4:5], -v[8:9]
	v_add_f64 v[2:3], v[2:3], v[6:7]
	v_mul_f64 v[8:9], v[15:16], 0.5
	v_mul_f64 v[15:16], v[17:18], 0.5
	;; [unrolled: 1-line block ×3, first 2 shown]
	s_waitcnt vmcnt(0)
	v_mul_f64 v[6:7], v[8:9], v[12:13]
	v_fma_f64 v[17:18], v[15:16], v[12:13], v[4:5]
	v_fma_f64 v[4:5], v[15:16], v[12:13], -v[4:5]
	v_fma_f64 v[12:13], v[2:3], 0.5, v[6:7]
	v_fma_f64 v[2:3], v[2:3], 0.5, -v[6:7]
	v_fma_f64 v[6:7], -v[10:11], v[8:9], v[17:18]
	v_fma_f64 v[4:5], -v[10:11], v[8:9], v[4:5]
	v_fma_f64 v[8:9], v[15:16], v[10:11], v[12:13]
	v_fma_f64 v[2:3], -v[15:16], v[10:11], v[2:3]
	ds_write2_b64 v58, v[8:9], v[6:7] offset0:72 offset1:73
	ds_write_b128 v14, v[2:5] offset:864
	s_waitcnt lgkmcnt(0)
	s_barrier
	buffer_gl0_inv
	s_and_saveexec_b32 s0, vcc_lo
	s_cbranch_execz .LBB0_25
; %bb.23:
	ds_read_b128 v[4:7], v58
	ds_read_b128 v[8:11], v58 offset:144
	ds_read_b128 v[12:15], v58 offset:288
	;; [unrolled: 1-line block ×9, first 2 shown]
	v_add_co_u32 v2, vcc_lo, s2, v50
	v_add_co_ci_u32_e32 v3, vcc_lo, s3, v51, vcc_lo
	v_add_co_u32 v0, vcc_lo, v2, v0
	v_add_co_ci_u32_e32 v1, vcc_lo, v3, v1, vcc_lo
	v_cmp_eq_u32_e32 vcc_lo, 8, v48
	s_waitcnt lgkmcnt(9)
	global_store_dwordx4 v[0:1], v[4:7], off
	s_waitcnt lgkmcnt(8)
	global_store_dwordx4 v[0:1], v[8:11], off offset:144
	s_waitcnt lgkmcnt(7)
	global_store_dwordx4 v[0:1], v[12:15], off offset:288
	;; [unrolled: 2-line block ×9, first 2 shown]
	s_and_b32 exec_lo, exec_lo, vcc_lo
	s_cbranch_execz .LBB0_25
; %bb.24:
	ds_read_b128 v[4:7], v58 offset:1312
	s_waitcnt lgkmcnt(0)
	global_store_dwordx4 v[2:3], v[4:7], off offset:1440
.LBB0_25:
	s_endpgm
	.section	.rodata,"a",@progbits
	.p2align	6, 0x0
	.amdhsa_kernel fft_rtc_back_len90_factors_3_3_10_wgs_63_tpt_9_halfLds_dp_ip_CI_unitstride_sbrr_R2C_dirReg
		.amdhsa_group_segment_fixed_size 0
		.amdhsa_private_segment_fixed_size 0
		.amdhsa_kernarg_size 88
		.amdhsa_user_sgpr_count 6
		.amdhsa_user_sgpr_private_segment_buffer 1
		.amdhsa_user_sgpr_dispatch_ptr 0
		.amdhsa_user_sgpr_queue_ptr 0
		.amdhsa_user_sgpr_kernarg_segment_ptr 1
		.amdhsa_user_sgpr_dispatch_id 0
		.amdhsa_user_sgpr_flat_scratch_init 0
		.amdhsa_user_sgpr_private_segment_size 0
		.amdhsa_wavefront_size32 1
		.amdhsa_uses_dynamic_stack 0
		.amdhsa_system_sgpr_private_segment_wavefront_offset 0
		.amdhsa_system_sgpr_workgroup_id_x 1
		.amdhsa_system_sgpr_workgroup_id_y 0
		.amdhsa_system_sgpr_workgroup_id_z 0
		.amdhsa_system_sgpr_workgroup_info 0
		.amdhsa_system_vgpr_workitem_id 0
		.amdhsa_next_free_vgpr 114
		.amdhsa_next_free_sgpr 21
		.amdhsa_reserve_vcc 1
		.amdhsa_reserve_flat_scratch 0
		.amdhsa_float_round_mode_32 0
		.amdhsa_float_round_mode_16_64 0
		.amdhsa_float_denorm_mode_32 3
		.amdhsa_float_denorm_mode_16_64 3
		.amdhsa_dx10_clamp 1
		.amdhsa_ieee_mode 1
		.amdhsa_fp16_overflow 0
		.amdhsa_workgroup_processor_mode 1
		.amdhsa_memory_ordered 1
		.amdhsa_forward_progress 0
		.amdhsa_shared_vgpr_count 0
		.amdhsa_exception_fp_ieee_invalid_op 0
		.amdhsa_exception_fp_denorm_src 0
		.amdhsa_exception_fp_ieee_div_zero 0
		.amdhsa_exception_fp_ieee_overflow 0
		.amdhsa_exception_fp_ieee_underflow 0
		.amdhsa_exception_fp_ieee_inexact 0
		.amdhsa_exception_int_div_zero 0
	.end_amdhsa_kernel
	.text
.Lfunc_end0:
	.size	fft_rtc_back_len90_factors_3_3_10_wgs_63_tpt_9_halfLds_dp_ip_CI_unitstride_sbrr_R2C_dirReg, .Lfunc_end0-fft_rtc_back_len90_factors_3_3_10_wgs_63_tpt_9_halfLds_dp_ip_CI_unitstride_sbrr_R2C_dirReg
                                        ; -- End function
	.section	.AMDGPU.csdata,"",@progbits
; Kernel info:
; codeLenInByte = 7084
; NumSgprs: 23
; NumVgprs: 114
; ScratchSize: 0
; MemoryBound: 0
; FloatMode: 240
; IeeeMode: 1
; LDSByteSize: 0 bytes/workgroup (compile time only)
; SGPRBlocks: 2
; VGPRBlocks: 14
; NumSGPRsForWavesPerEU: 23
; NumVGPRsForWavesPerEU: 114
; Occupancy: 8
; WaveLimiterHint : 1
; COMPUTE_PGM_RSRC2:SCRATCH_EN: 0
; COMPUTE_PGM_RSRC2:USER_SGPR: 6
; COMPUTE_PGM_RSRC2:TRAP_HANDLER: 0
; COMPUTE_PGM_RSRC2:TGID_X_EN: 1
; COMPUTE_PGM_RSRC2:TGID_Y_EN: 0
; COMPUTE_PGM_RSRC2:TGID_Z_EN: 0
; COMPUTE_PGM_RSRC2:TIDIG_COMP_CNT: 0
	.text
	.p2alignl 6, 3214868480
	.fill 48, 4, 3214868480
	.type	__hip_cuid_78f119a51e5fb366,@object ; @__hip_cuid_78f119a51e5fb366
	.section	.bss,"aw",@nobits
	.globl	__hip_cuid_78f119a51e5fb366
__hip_cuid_78f119a51e5fb366:
	.byte	0                               ; 0x0
	.size	__hip_cuid_78f119a51e5fb366, 1

	.ident	"AMD clang version 19.0.0git (https://github.com/RadeonOpenCompute/llvm-project roc-6.4.0 25133 c7fe45cf4b819c5991fe208aaa96edf142730f1d)"
	.section	".note.GNU-stack","",@progbits
	.addrsig
	.addrsig_sym __hip_cuid_78f119a51e5fb366
	.amdgpu_metadata
---
amdhsa.kernels:
  - .args:
      - .actual_access:  read_only
        .address_space:  global
        .offset:         0
        .size:           8
        .value_kind:     global_buffer
      - .offset:         8
        .size:           8
        .value_kind:     by_value
      - .actual_access:  read_only
        .address_space:  global
        .offset:         16
        .size:           8
        .value_kind:     global_buffer
      - .actual_access:  read_only
        .address_space:  global
        .offset:         24
        .size:           8
        .value_kind:     global_buffer
      - .offset:         32
        .size:           8
        .value_kind:     by_value
      - .actual_access:  read_only
        .address_space:  global
        .offset:         40
        .size:           8
        .value_kind:     global_buffer
      - .actual_access:  read_only
        .address_space:  global
        .offset:         48
        .size:           8
        .value_kind:     global_buffer
      - .offset:         56
        .size:           4
        .value_kind:     by_value
      - .actual_access:  read_only
        .address_space:  global
        .offset:         64
        .size:           8
        .value_kind:     global_buffer
      - .actual_access:  read_only
        .address_space:  global
        .offset:         72
        .size:           8
        .value_kind:     global_buffer
      - .address_space:  global
        .offset:         80
        .size:           8
        .value_kind:     global_buffer
    .group_segment_fixed_size: 0
    .kernarg_segment_align: 8
    .kernarg_segment_size: 88
    .language:       OpenCL C
    .language_version:
      - 2
      - 0
    .max_flat_workgroup_size: 63
    .name:           fft_rtc_back_len90_factors_3_3_10_wgs_63_tpt_9_halfLds_dp_ip_CI_unitstride_sbrr_R2C_dirReg
    .private_segment_fixed_size: 0
    .sgpr_count:     23
    .sgpr_spill_count: 0
    .symbol:         fft_rtc_back_len90_factors_3_3_10_wgs_63_tpt_9_halfLds_dp_ip_CI_unitstride_sbrr_R2C_dirReg.kd
    .uniform_work_group_size: 1
    .uses_dynamic_stack: false
    .vgpr_count:     114
    .vgpr_spill_count: 0
    .wavefront_size: 32
    .workgroup_processor_mode: 1
amdhsa.target:   amdgcn-amd-amdhsa--gfx1030
amdhsa.version:
  - 1
  - 2
...

	.end_amdgpu_metadata
